;; amdgpu-corpus repo=ROCm/rocFFT kind=compiled arch=gfx1030 opt=O3
	.text
	.amdgcn_target "amdgcn-amd-amdhsa--gfx1030"
	.amdhsa_code_object_version 6
	.protected	fft_rtc_fwd_len462_factors_11_6_7_wgs_231_tpt_77_sp_op_CI_CI_unitstride_sbrr_C2R_dirReg ; -- Begin function fft_rtc_fwd_len462_factors_11_6_7_wgs_231_tpt_77_sp_op_CI_CI_unitstride_sbrr_C2R_dirReg
	.globl	fft_rtc_fwd_len462_factors_11_6_7_wgs_231_tpt_77_sp_op_CI_CI_unitstride_sbrr_C2R_dirReg
	.p2align	8
	.type	fft_rtc_fwd_len462_factors_11_6_7_wgs_231_tpt_77_sp_op_CI_CI_unitstride_sbrr_C2R_dirReg,@function
fft_rtc_fwd_len462_factors_11_6_7_wgs_231_tpt_77_sp_op_CI_CI_unitstride_sbrr_C2R_dirReg: ; @fft_rtc_fwd_len462_factors_11_6_7_wgs_231_tpt_77_sp_op_CI_CI_unitstride_sbrr_C2R_dirReg
; %bb.0:
	s_load_dwordx4 s[12:15], s[4:5], 0x0
	v_mul_u32_u24_e32 v1, 0x354, v0
	s_clause 0x1
	s_load_dwordx4 s[8:11], s[4:5], 0x58
	s_load_dwordx4 s[16:19], s[4:5], 0x18
	v_mov_b32_e32 v5, 0
	v_lshrrev_b32_e32 v3, 16, v1
	v_mov_b32_e32 v1, 0
	v_mov_b32_e32 v2, 0
	v_mad_u64_u32 v[3:4], null, s6, 3, v[3:4]
	v_mov_b32_e32 v4, v5
	v_mov_b32_e32 v21, v2
	;; [unrolled: 1-line block ×5, first 2 shown]
	s_waitcnt lgkmcnt(0)
	v_cmp_lt_u64_e64 s0, s[14:15], 2
	s_and_b32 vcc_lo, exec_lo, s0
	s_cbranch_vccnz .LBB0_8
; %bb.1:
	s_load_dwordx2 s[0:1], s[4:5], 0x10
	v_mov_b32_e32 v1, 0
	v_mov_b32_e32 v2, 0
	s_add_u32 s2, s18, 8
	v_mov_b32_e32 v8, v4
	s_addc_u32 s3, s19, 0
	v_mov_b32_e32 v7, v3
	v_mov_b32_e32 v21, v2
	s_add_u32 s6, s16, 8
	v_mov_b32_e32 v20, v1
	s_addc_u32 s7, s17, 0
	s_mov_b64 s[22:23], 1
	s_waitcnt lgkmcnt(0)
	s_add_u32 s20, s0, 8
	s_addc_u32 s21, s1, 0
.LBB0_2:                                ; =>This Inner Loop Header: Depth=1
	s_load_dwordx2 s[24:25], s[20:21], 0x0
                                        ; implicit-def: $vgpr22_vgpr23
	s_mov_b32 s0, exec_lo
	s_waitcnt lgkmcnt(0)
	v_or_b32_e32 v6, s25, v8
	v_cmpx_ne_u64_e32 0, v[5:6]
	s_xor_b32 s1, exec_lo, s0
	s_cbranch_execz .LBB0_4
; %bb.3:                                ;   in Loop: Header=BB0_2 Depth=1
	v_cvt_f32_u32_e32 v4, s24
	v_cvt_f32_u32_e32 v6, s25
	s_sub_u32 s0, 0, s24
	s_subb_u32 s26, 0, s25
	v_fmac_f32_e32 v4, 0x4f800000, v6
	v_rcp_f32_e32 v4, v4
	v_mul_f32_e32 v4, 0x5f7ffffc, v4
	v_mul_f32_e32 v6, 0x2f800000, v4
	v_trunc_f32_e32 v6, v6
	v_fmac_f32_e32 v4, 0xcf800000, v6
	v_cvt_u32_f32_e32 v6, v6
	v_cvt_u32_f32_e32 v4, v4
	v_mul_lo_u32 v9, s0, v6
	v_mul_hi_u32 v10, s0, v4
	v_mul_lo_u32 v11, s26, v4
	v_add_nc_u32_e32 v9, v10, v9
	v_mul_lo_u32 v10, s0, v4
	v_add_nc_u32_e32 v9, v9, v11
	v_mul_hi_u32 v11, v4, v10
	v_mul_lo_u32 v12, v4, v9
	v_mul_hi_u32 v13, v4, v9
	v_mul_hi_u32 v14, v6, v10
	v_mul_lo_u32 v10, v6, v10
	v_mul_hi_u32 v15, v6, v9
	v_mul_lo_u32 v9, v6, v9
	v_add_co_u32 v11, vcc_lo, v11, v12
	v_add_co_ci_u32_e32 v12, vcc_lo, 0, v13, vcc_lo
	v_add_co_u32 v10, vcc_lo, v11, v10
	v_add_co_ci_u32_e32 v10, vcc_lo, v12, v14, vcc_lo
	v_add_co_ci_u32_e32 v11, vcc_lo, 0, v15, vcc_lo
	v_add_co_u32 v9, vcc_lo, v10, v9
	v_add_co_ci_u32_e32 v10, vcc_lo, 0, v11, vcc_lo
	v_add_co_u32 v4, vcc_lo, v4, v9
	v_add_co_ci_u32_e32 v6, vcc_lo, v6, v10, vcc_lo
	v_mul_hi_u32 v9, s0, v4
	v_mul_lo_u32 v11, s26, v4
	v_mul_lo_u32 v10, s0, v6
	v_add_nc_u32_e32 v9, v9, v10
	v_mul_lo_u32 v10, s0, v4
	v_add_nc_u32_e32 v9, v9, v11
	v_mul_hi_u32 v11, v4, v10
	v_mul_lo_u32 v12, v4, v9
	v_mul_hi_u32 v13, v4, v9
	v_mul_hi_u32 v14, v6, v10
	v_mul_lo_u32 v10, v6, v10
	v_mul_hi_u32 v15, v6, v9
	v_mul_lo_u32 v9, v6, v9
	v_add_co_u32 v11, vcc_lo, v11, v12
	v_add_co_ci_u32_e32 v12, vcc_lo, 0, v13, vcc_lo
	v_add_co_u32 v10, vcc_lo, v11, v10
	v_add_co_ci_u32_e32 v10, vcc_lo, v12, v14, vcc_lo
	v_add_co_ci_u32_e32 v11, vcc_lo, 0, v15, vcc_lo
	v_add_co_u32 v9, vcc_lo, v10, v9
	v_add_co_ci_u32_e32 v10, vcc_lo, 0, v11, vcc_lo
	v_add_co_u32 v4, vcc_lo, v4, v9
	v_add_co_ci_u32_e32 v6, vcc_lo, v6, v10, vcc_lo
	v_mul_hi_u32 v15, v7, v4
	v_mad_u64_u32 v[11:12], null, v8, v4, 0
	v_mad_u64_u32 v[9:10], null, v7, v6, 0
	;; [unrolled: 1-line block ×3, first 2 shown]
	v_add_co_u32 v4, vcc_lo, v15, v9
	v_add_co_ci_u32_e32 v6, vcc_lo, 0, v10, vcc_lo
	v_add_co_u32 v4, vcc_lo, v4, v11
	v_add_co_ci_u32_e32 v4, vcc_lo, v6, v12, vcc_lo
	v_add_co_ci_u32_e32 v6, vcc_lo, 0, v14, vcc_lo
	v_add_co_u32 v4, vcc_lo, v4, v13
	v_add_co_ci_u32_e32 v6, vcc_lo, 0, v6, vcc_lo
	v_mul_lo_u32 v11, s25, v4
	v_mad_u64_u32 v[9:10], null, s24, v4, 0
	v_mul_lo_u32 v12, s24, v6
	v_sub_co_u32 v9, vcc_lo, v7, v9
	v_add3_u32 v10, v10, v12, v11
	v_sub_nc_u32_e32 v11, v8, v10
	v_subrev_co_ci_u32_e64 v11, s0, s25, v11, vcc_lo
	v_add_co_u32 v12, s0, v4, 2
	v_add_co_ci_u32_e64 v13, s0, 0, v6, s0
	v_sub_co_u32 v14, s0, v9, s24
	v_sub_co_ci_u32_e32 v10, vcc_lo, v8, v10, vcc_lo
	v_subrev_co_ci_u32_e64 v11, s0, 0, v11, s0
	v_cmp_le_u32_e32 vcc_lo, s24, v14
	v_cmp_eq_u32_e64 s0, s25, v10
	v_cndmask_b32_e64 v14, 0, -1, vcc_lo
	v_cmp_le_u32_e32 vcc_lo, s25, v11
	v_cndmask_b32_e64 v15, 0, -1, vcc_lo
	v_cmp_le_u32_e32 vcc_lo, s24, v9
	;; [unrolled: 2-line block ×3, first 2 shown]
	v_cndmask_b32_e64 v16, 0, -1, vcc_lo
	v_cmp_eq_u32_e32 vcc_lo, s25, v11
	v_cndmask_b32_e64 v9, v16, v9, s0
	v_cndmask_b32_e32 v11, v15, v14, vcc_lo
	v_add_co_u32 v14, vcc_lo, v4, 1
	v_add_co_ci_u32_e32 v15, vcc_lo, 0, v6, vcc_lo
	v_cmp_ne_u32_e32 vcc_lo, 0, v11
	v_cndmask_b32_e32 v10, v15, v13, vcc_lo
	v_cndmask_b32_e32 v11, v14, v12, vcc_lo
	v_cmp_ne_u32_e32 vcc_lo, 0, v9
	v_cndmask_b32_e32 v23, v6, v10, vcc_lo
	v_cndmask_b32_e32 v22, v4, v11, vcc_lo
.LBB0_4:                                ;   in Loop: Header=BB0_2 Depth=1
	s_andn2_saveexec_b32 s0, s1
	s_cbranch_execz .LBB0_6
; %bb.5:                                ;   in Loop: Header=BB0_2 Depth=1
	v_cvt_f32_u32_e32 v4, s24
	s_sub_i32 s1, 0, s24
	v_mov_b32_e32 v23, v5
	v_rcp_iflag_f32_e32 v4, v4
	v_mul_f32_e32 v4, 0x4f7ffffe, v4
	v_cvt_u32_f32_e32 v4, v4
	v_mul_lo_u32 v6, s1, v4
	v_mul_hi_u32 v6, v4, v6
	v_add_nc_u32_e32 v4, v4, v6
	v_mul_hi_u32 v4, v7, v4
	v_mul_lo_u32 v6, v4, s24
	v_add_nc_u32_e32 v9, 1, v4
	v_sub_nc_u32_e32 v6, v7, v6
	v_subrev_nc_u32_e32 v10, s24, v6
	v_cmp_le_u32_e32 vcc_lo, s24, v6
	v_cndmask_b32_e32 v6, v6, v10, vcc_lo
	v_cndmask_b32_e32 v4, v4, v9, vcc_lo
	v_cmp_le_u32_e32 vcc_lo, s24, v6
	v_add_nc_u32_e32 v9, 1, v4
	v_cndmask_b32_e32 v22, v4, v9, vcc_lo
.LBB0_6:                                ;   in Loop: Header=BB0_2 Depth=1
	s_or_b32 exec_lo, exec_lo, s0
	v_mul_lo_u32 v4, v23, s24
	v_mul_lo_u32 v6, v22, s25
	s_load_dwordx2 s[0:1], s[6:7], 0x0
	v_mad_u64_u32 v[9:10], null, v22, s24, 0
	s_load_dwordx2 s[24:25], s[2:3], 0x0
	s_add_u32 s22, s22, 1
	s_addc_u32 s23, s23, 0
	s_add_u32 s2, s2, 8
	s_addc_u32 s3, s3, 0
	s_add_u32 s6, s6, 8
	v_add3_u32 v4, v10, v6, v4
	v_sub_co_u32 v6, vcc_lo, v7, v9
	s_addc_u32 s7, s7, 0
	s_add_u32 s20, s20, 8
	v_sub_co_ci_u32_e32 v4, vcc_lo, v8, v4, vcc_lo
	s_addc_u32 s21, s21, 0
	s_waitcnt lgkmcnt(0)
	v_mul_lo_u32 v7, s0, v4
	v_mul_lo_u32 v8, s1, v6
	v_mad_u64_u32 v[1:2], null, s0, v6, v[1:2]
	v_mul_lo_u32 v4, s24, v4
	v_mul_lo_u32 v9, s25, v6
	v_mad_u64_u32 v[20:21], null, s24, v6, v[20:21]
	v_cmp_ge_u64_e64 s0, s[22:23], s[14:15]
	v_add3_u32 v2, v8, v2, v7
	v_add3_u32 v21, v9, v21, v4
	s_and_b32 vcc_lo, exec_lo, s0
	s_cbranch_vccnz .LBB0_8
; %bb.7:                                ;   in Loop: Header=BB0_2 Depth=1
	v_mov_b32_e32 v7, v22
	v_mov_b32_e32 v8, v23
	s_branch .LBB0_2
.LBB0_8:
	s_load_dwordx2 s[0:1], s[4:5], 0x28
	v_mul_hi_u32 v4, 0xaaaaaaab, v3
	v_mul_hi_u32 v5, 0x3531ded, v0
	s_lshl_b64 s[4:5], s[14:15], 3
                                        ; implicit-def: $vgpr24
	s_add_u32 s2, s18, s4
	s_addc_u32 s3, s19, s5
	v_lshrrev_b32_e32 v4, 1, v4
	v_lshl_add_u32 v4, v4, 1, v4
	v_sub_nc_u32_e32 v3, v3, v4
	s_waitcnt lgkmcnt(0)
	v_cmp_gt_u64_e32 vcc_lo, s[0:1], v[22:23]
	v_cmp_le_u64_e64 s0, s[0:1], v[22:23]
	s_and_saveexec_b32 s1, s0
	s_xor_b32 s0, exec_lo, s1
; %bb.9:
	v_mul_u32_u24_e32 v1, 0x4d, v5
                                        ; implicit-def: $vgpr5
	v_sub_nc_u32_e32 v24, v0, v1
                                        ; implicit-def: $vgpr0
                                        ; implicit-def: $vgpr1_vgpr2
; %bb.10:
	s_or_saveexec_b32 s1, s0
	s_load_dwordx2 s[2:3], s[2:3], 0x0
	v_mul_u32_u24_e32 v4, 0x1cf, v3
	v_lshlrev_b32_e32 v36, 3, v4
	s_xor_b32 exec_lo, exec_lo, s1
	s_cbranch_execz .LBB0_14
; %bb.11:
	s_add_u32 s4, s16, s4
	s_addc_u32 s5, s17, s5
	v_lshlrev_b64 v[1:2], 3, v[1:2]
	s_load_dwordx2 s[4:5], s[4:5], 0x0
	s_waitcnt lgkmcnt(0)
	v_mul_lo_u32 v3, s5, v22
	v_mul_lo_u32 v8, s4, v23
	v_mad_u64_u32 v[6:7], null, s4, v22, 0
	s_mov_b32 s4, exec_lo
	v_add3_u32 v7, v7, v8, v3
	v_mul_u32_u24_e32 v3, 0x4d, v5
	v_lshlrev_b64 v[5:6], 3, v[6:7]
	v_sub_nc_u32_e32 v24, v0, v3
	v_lshlrev_b32_e32 v17, 3, v24
	v_add_co_u32 v0, s0, s8, v5
	v_add_co_ci_u32_e64 v3, s0, s9, v6, s0
	v_add_co_u32 v0, s0, v0, v1
	v_add_co_ci_u32_e64 v1, s0, v3, v2, s0
	;; [unrolled: 2-line block ×4, first 2 shown]
	s_clause 0x5
	global_load_dwordx2 v[7:8], v[2:3], off
	global_load_dwordx2 v[9:10], v[2:3], off offset:616
	global_load_dwordx2 v[11:12], v[2:3], off offset:1232
	;; [unrolled: 1-line block ×5, first 2 shown]
	v_add3_u32 v2, 0, v36, v17
	v_add_nc_u32_e32 v3, 0x800, v2
	s_waitcnt vmcnt(4)
	ds_write2_b64 v2, v[7:8], v[9:10] offset1:77
	s_waitcnt vmcnt(2)
	ds_write2_b64 v2, v[11:12], v[13:14] offset0:154 offset1:231
	s_waitcnt vmcnt(0)
	ds_write2_b64 v3, v[15:16], v[5:6] offset0:52 offset1:129
	v_cmpx_eq_u32_e32 0x4c, v24
	s_cbranch_execz .LBB0_13
; %bb.12:
	v_add_co_u32 v0, s0, 0x800, v0
	v_add_co_ci_u32_e64 v1, s0, 0, v1, s0
	v_mov_b32_e32 v24, 0x4c
	global_load_dwordx2 v[0:1], v[0:1], off offset:1648
	s_waitcnt vmcnt(0)
	ds_write_b64 v2, v[0:1] offset:3088
.LBB0_13:
	s_or_b32 exec_lo, exec_lo, s4
.LBB0_14:
	s_or_b32 exec_lo, exec_lo, s1
	v_lshl_add_u32 v33, v4, 3, 0
	v_lshlrev_b32_e32 v0, 3, v24
	s_waitcnt lgkmcnt(0)
	s_barrier
	buffer_gl0_inv
	s_add_u32 s1, s12, 0xe18
	v_add_nc_u32_e32 v34, v33, v0
	v_sub_nc_u32_e32 v5, v33, v0
	s_addc_u32 s4, s13, 0
	s_mov_b32 s5, exec_lo
	ds_read_b32 v6, v34
	ds_read_b32 v7, v5 offset:3696
                                        ; implicit-def: $vgpr2_vgpr3
	s_waitcnt lgkmcnt(0)
	v_add_f32_e32 v0, v7, v6
	v_sub_f32_e32 v1, v6, v7
	v_cmpx_ne_u32_e32 0, v24
	s_xor_b32 s5, exec_lo, s5
	s_cbranch_execz .LBB0_16
; %bb.15:
	v_mov_b32_e32 v25, 0
	v_add_f32_e32 v8, v7, v6
	v_sub_f32_e32 v9, v6, v7
	v_lshlrev_b64 v[0:1], 3, v[24:25]
	v_add_co_u32 v0, s0, s1, v0
	v_add_co_ci_u32_e64 v1, s0, s4, v1, s0
	global_load_dwordx2 v[2:3], v[0:1], off
	ds_read_b32 v0, v5 offset:3700
	ds_read_b32 v1, v34 offset:4
	s_waitcnt lgkmcnt(0)
	v_add_f32_e32 v10, v0, v1
	v_sub_f32_e32 v0, v1, v0
	s_waitcnt vmcnt(0)
	v_fma_f32 v6, -v9, v3, v8
	v_fma_f32 v7, v10, v3, -v0
	v_fma_f32 v11, v9, v3, v8
	v_fma_f32 v1, v10, v3, v0
	v_fmac_f32_e32 v6, v2, v10
	v_fmac_f32_e32 v7, v9, v2
	v_fma_f32 v0, -v2, v10, v11
	v_fmac_f32_e32 v1, v9, v2
	v_mov_b32_e32 v2, v24
	v_mov_b32_e32 v3, v25
	ds_write_b64 v5, v[6:7] offset:3696
.LBB0_16:
	s_andn2_saveexec_b32 s0, s5
	s_cbranch_execz .LBB0_18
; %bb.17:
	ds_read_b64 v[2:3], v33 offset:1848
	s_waitcnt lgkmcnt(0)
	v_add_f32_e32 v6, v2, v2
	v_mul_f32_e32 v7, -2.0, v3
	v_mov_b32_e32 v2, 0
	v_mov_b32_e32 v3, 0
	ds_write_b64 v33, v[6:7] offset:1848
.LBB0_18:
	s_or_b32 exec_lo, exec_lo, s0
	v_lshlrev_b64 v[2:3], 3, v[2:3]
	v_lshl_add_u32 v37, v24, 3, 0
	v_lshl_add_u32 v35, v4, 3, v37
	v_add_co_u32 v2, s0, s1, v2
	v_add_co_ci_u32_e64 v3, s0, s4, v3, s0
	v_add_nc_u32_e32 v4, 0x800, v35
	s_mov_b32 s1, exec_lo
	s_clause 0x1
	global_load_dwordx2 v[6:7], v[2:3], off offset:616
	global_load_dwordx2 v[2:3], v[2:3], off offset:1232
	ds_write_b64 v34, v[0:1]
	ds_read_b64 v[0:1], v34 offset:616
	ds_read_b64 v[8:9], v5 offset:3080
	s_waitcnt lgkmcnt(0)
	v_add_f32_e32 v10, v0, v8
	v_add_f32_e32 v11, v9, v1
	v_sub_f32_e32 v12, v0, v8
	v_sub_f32_e32 v0, v1, v9
	s_waitcnt vmcnt(1)
	v_fma_f32 v13, v12, v7, v10
	v_fma_f32 v1, v11, v7, v0
	v_fma_f32 v8, -v12, v7, v10
	v_fma_f32 v9, v11, v7, -v0
	v_fma_f32 v0, -v6, v11, v13
	v_fmac_f32_e32 v1, v12, v6
	v_fmac_f32_e32 v8, v6, v11
	;; [unrolled: 1-line block ×3, first 2 shown]
	ds_write_b64 v34, v[0:1] offset:616
	ds_write_b64 v5, v[8:9] offset:3080
	ds_read_b64 v[0:1], v34 offset:1232
	ds_read_b64 v[6:7], v5 offset:2464
	s_waitcnt lgkmcnt(0)
	v_add_f32_e32 v8, v0, v6
	v_add_f32_e32 v9, v7, v1
	v_sub_f32_e32 v10, v0, v6
	v_sub_f32_e32 v0, v1, v7
	s_waitcnt vmcnt(0)
	v_fma_f32 v11, v10, v3, v8
	v_fma_f32 v1, v9, v3, v0
	v_fma_f32 v6, -v10, v3, v8
	v_fma_f32 v7, v9, v3, -v0
	v_fma_f32 v0, -v2, v9, v11
	v_fmac_f32_e32 v1, v10, v2
	v_fmac_f32_e32 v6, v2, v9
	;; [unrolled: 1-line block ×3, first 2 shown]
	ds_write_b64 v34, v[0:1] offset:1232
	ds_write_b64 v5, v[6:7] offset:2464
	s_waitcnt lgkmcnt(0)
	s_barrier
	buffer_gl0_inv
	s_barrier
	buffer_gl0_inv
	ds_read2_b64 v[16:19], v35 offset0:42 offset1:84
	ds_read2_b64 v[0:3], v4 offset0:122 offset1:164
	;; [unrolled: 1-line block ×5, first 2 shown]
	ds_read_b64 v[27:28], v34
	s_waitcnt lgkmcnt(0)
	s_barrier
	buffer_gl0_inv
	v_sub_f32_e32 v49, v16, v2
	v_sub_f32_e32 v48, v17, v3
	v_add_f32_e32 v38, v2, v16
	v_add_f32_e32 v45, v3, v17
	v_sub_f32_e32 v51, v18, v0
	v_sub_f32_e32 v50, v19, v1
	v_mul_f32_e32 v58, 0xbe903f40, v48
	v_mul_f32_e32 v63, 0xbe903f40, v49
	v_add_f32_e32 v39, v0, v18
	v_add_f32_e32 v41, v1, v19
	v_sub_f32_e32 v53, v12, v6
	v_sub_f32_e32 v52, v13, v7
	v_mul_f32_e32 v32, 0x3f0a6770, v50
	v_mul_f32_e32 v62, 0x3f0a6770, v51
	v_fmamk_f32 v25, v38, 0xbf75a155, v58
	v_fma_f32 v26, 0xbf75a155, v45, -v63
	v_add_f32_e32 v40, v6, v12
	v_add_f32_e32 v44, v7, v13
	v_sub_f32_e32 v55, v14, v4
	v_sub_f32_e32 v54, v15, v5
	v_mul_f32_e32 v30, 0xbf4178ce, v52
	v_mul_f32_e32 v60, 0xbf4178ce, v53
	v_fmamk_f32 v61, v39, 0x3f575c64, v32
	v_fma_f32 v64, 0x3f575c64, v41, -v62
	v_add_f32_e32 v25, v27, v25
	v_add_f32_e32 v26, v28, v26
	;; [unrolled: 1-line block ×4, first 2 shown]
	v_sub_f32_e32 v56, v9, v11
	v_sub_f32_e32 v57, v8, v10
	v_mul_f32_e32 v29, 0x3f68dda4, v54
	v_mul_f32_e32 v59, 0x3f68dda4, v55
	v_fmamk_f32 v65, v40, 0xbf27a4f4, v30
	v_fma_f32 v66, 0xbf27a4f4, v44, -v60
	v_add_f32_e32 v25, v61, v25
	v_add_f32_e32 v26, v64, v26
	;; [unrolled: 1-line block ×4, first 2 shown]
	v_mul_f32_e32 v31, 0xbf7d64f0, v56
	v_mul_f32_e32 v61, 0xbf7d64f0, v57
	v_fmamk_f32 v64, v42, 0x3ed4b147, v29
	v_fma_f32 v67, 0x3ed4b147, v46, -v59
	v_add_f32_e32 v25, v65, v25
	v_add_f32_e32 v26, v66, v26
	v_fmamk_f32 v65, v43, 0xbe11bafb, v31
	v_fma_f32 v66, 0xbe11bafb, v47, -v61
	v_add_f32_e32 v25, v64, v25
	v_add_f32_e32 v26, v67, v26
	v_add_f32_e32 v25, v65, v25
	v_add_f32_e32 v26, v66, v26
	v_cmpx_gt_u32_e32 42, v24
	s_cbranch_execz .LBB0_20
; %bb.19:
	v_mul_f32_e32 v64, 0xbf75a155, v45
	v_mul_f32_e32 v67, 0x3f575c64, v41
	;; [unrolled: 1-line block ×5, first 2 shown]
	v_add_f32_e32 v63, v63, v64
	v_mul_f32_e32 v64, 0xbf27a4f4, v44
	v_add_f32_e32 v62, v62, v67
	v_mul_f32_e32 v66, 0x3f575c64, v39
	v_sub_f32_e32 v58, v65, v58
	v_add_f32_e32 v63, v28, v63
	v_add_f32_e32 v60, v60, v64
	;; [unrolled: 1-line block ×3, first 2 shown]
	v_fmamk_f32 v64, v45, 0xbf27a4f4, v72
	v_mul_f32_e32 v68, 0xbf27a4f4, v40
	v_add_f32_e32 v62, v62, v63
	v_mul_f32_e32 v63, 0x3f7d64f0, v51
	v_mul_f32_e32 v71, 0xbe11bafb, v47
	v_sub_f32_e32 v32, v66, v32
	v_add_f32_e32 v58, v27, v58
	v_add_f32_e32 v60, v60, v62
	v_fmamk_f32 v62, v41, 0xbe11bafb, v63
	v_add_f32_e32 v64, v28, v64
	v_mul_f32_e32 v69, 0x3ed4b147, v42
	v_add_f32_e32 v32, v32, v58
	v_add_f32_e32 v59, v59, v60
	v_mul_f32_e32 v60, 0xbf0a6770, v53
	v_sub_f32_e32 v30, v68, v30
	v_add_f32_e32 v58, v61, v71
	v_add_f32_e32 v61, v62, v64
	v_mul_f32_e32 v64, 0xbe903f40, v55
	v_fmamk_f32 v62, v44, 0x3f575c64, v60
	v_add_f32_e32 v32, v30, v32
	v_sub_f32_e32 v29, v69, v29
	v_add_f32_e32 v30, v58, v59
	v_fmamk_f32 v59, v46, 0xbf75a155, v64
	v_add_f32_e32 v58, v62, v61
	v_mul_f32_e32 v61, 0x3f68dda4, v57
	v_mul_f32_e32 v67, 0xbe11bafb, v43
	v_add_f32_e32 v29, v29, v32
	v_mul_f32_e32 v62, 0xbf4178ce, v48
	v_add_f32_e32 v32, v59, v58
	v_fmamk_f32 v58, v47, 0x3ed4b147, v61
	v_mul_f32_e32 v59, 0xbf7d64f0, v49
	v_sub_f32_e32 v31, v67, v31
	v_mul_f32_e32 v66, 0x3e903f40, v51
	v_mul_f32_e32 v65, 0x3f7d64f0, v50
	v_add_f32_e32 v32, v58, v32
	v_fmamk_f32 v58, v45, 0xbe11bafb, v59
	v_add_f32_e32 v29, v31, v29
	v_fma_f32 v31, 0xbf27a4f4, v38, -v62
	v_fmamk_f32 v69, v41, 0xbf75a155, v66
	v_mul_f32_e32 v70, 0x3f68dda4, v53
	v_add_f32_e32 v58, v28, v58
	v_fma_f32 v67, 0xbe11bafb, v39, -v65
	v_add_f32_e32 v31, v27, v31
	v_mul_f32_e32 v68, 0xbf0a6770, v52
	v_mul_f32_e32 v73, 0xbf0a6770, v55
	v_add_f32_e32 v58, v69, v58
	v_fmamk_f32 v69, v44, 0x3ed4b147, v70
	v_mul_f32_e32 v74, 0xbf7d64f0, v48
	v_add_f32_e32 v31, v67, v31
	v_fma_f32 v67, 0x3f575c64, v40, -v68
	v_mul_f32_e32 v71, 0xbe903f40, v54
	v_add_f32_e32 v58, v69, v58
	v_fmamk_f32 v69, v46, 0x3f575c64, v73
	v_fma_f32 v75, 0xbe11bafb, v38, -v74
	v_mul_f32_e32 v76, 0x3e903f40, v50
	v_add_f32_e32 v31, v67, v31
	v_fma_f32 v67, 0xbf75a155, v42, -v71
	v_add_f32_e32 v58, v69, v58
	v_add_f32_e32 v69, v27, v75
	v_fma_f32 v75, 0xbf75a155, v39, -v76
	v_mul_f32_e32 v77, 0x3f68dda4, v52
	v_add_f32_e32 v17, v28, v17
	v_add_f32_e32 v16, v27, v16
	;; [unrolled: 1-line block ×3, first 2 shown]
	v_mul_f32_e32 v67, 0x3f68dda4, v56
	v_add_f32_e32 v69, v75, v69
	v_fma_f32 v75, 0x3ed4b147, v40, -v77
	v_add_f32_e32 v17, v17, v19
	v_add_f32_e32 v16, v16, v18
	v_mul_f32_e32 v19, 0xbf0a6770, v54
	v_fma_f32 v78, 0x3ed4b147, v43, -v67
	v_mul_f32_e32 v18, 0xbf4178ce, v57
	v_add_f32_e32 v69, v75, v69
	v_add_f32_e32 v13, v17, v13
	v_add_f32_e32 v12, v16, v12
	v_mul_f32_e32 v16, 0xbf68dda4, v49
	v_fma_f32 v17, 0x3f575c64, v42, -v19
	v_mul_f32_e32 v75, 0xbf4178ce, v56
	v_add_f32_e32 v15, v13, v15
	v_add_f32_e32 v14, v12, v14
	v_fmamk_f32 v12, v45, 0x3ed4b147, v16
	v_mul_f32_e32 v79, 0xbf4178ce, v51
	v_fmamk_f32 v13, v47, 0xbf27a4f4, v18
	v_add_f32_e32 v17, v17, v69
	v_fma_f32 v69, 0xbf27a4f4, v43, -v75
	v_add_f32_e32 v31, v78, v31
	v_mul_f32_e32 v78, 0xbf68dda4, v48
	v_add_f32_e32 v80, v28, v12
	v_fmamk_f32 v81, v41, 0xbf27a4f4, v79
	v_add_f32_e32 v13, v13, v58
	v_add_f32_e32 v12, v69, v17
	v_mul_f32_e32 v58, 0x3e903f40, v53
	v_fma_f32 v69, 0x3ed4b147, v38, -v78
	v_add_f32_e32 v9, v15, v9
	v_add_f32_e32 v8, v14, v8
	v_mul_f32_e32 v14, 0xbf4178ce, v50
	v_add_f32_e32 v17, v81, v80
	v_fmamk_f32 v15, v44, 0xbf75a155, v58
	v_add_f32_e32 v69, v27, v69
	v_add_f32_e32 v9, v9, v11
	;; [unrolled: 1-line block ×3, first 2 shown]
	v_fma_f32 v10, 0xbf27a4f4, v39, -v14
	v_mul_f32_e32 v11, 0x3e903f40, v52
	v_mul_f32_e32 v80, 0x3f7d64f0, v55
	v_add_f32_e32 v15, v15, v17
	v_add_f32_e32 v4, v8, v4
	;; [unrolled: 1-line block ×3, first 2 shown]
	v_fma_f32 v17, 0xbf75a155, v40, -v11
	v_mul_f32_e32 v81, 0x3f7d64f0, v54
	v_fmamk_f32 v69, v46, 0xbe11bafb, v80
	v_add_f32_e32 v5, v9, v5
	v_mul_f32_e32 v82, 0x3f0a6770, v56
	v_add_f32_e32 v8, v17, v10
	v_mul_f32_e32 v10, 0x3f0a6770, v57
	v_add_f32_e32 v17, v4, v6
	v_fma_f32 v4, 0xbe11bafb, v42, -v81
	v_add_f32_e32 v9, v5, v7
	v_add_f32_e32 v5, v69, v15
	v_fmamk_f32 v6, v47, 0x3f575c64, v10
	v_mul_f32_e32 v15, 0xbf0a6770, v49
	v_add_f32_e32 v4, v4, v8
	v_fma_f32 v7, 0x3f575c64, v43, -v82
	v_mul_f32_e32 v48, 0xbf0a6770, v48
	v_add_f32_e32 v5, v6, v5
	v_fmamk_f32 v6, v45, 0x3f575c64, v15
	v_mul_f32_e32 v49, 0xbf68dda4, v51
	v_add_f32_e32 v4, v7, v4
	v_fma_f32 v7, 0x3f575c64, v38, -v48
	v_mul_f32_e32 v50, 0xbf68dda4, v50
	v_add_f32_e32 v6, v28, v6
	v_fmamk_f32 v8, v41, 0x3ed4b147, v49
	v_mul_f32_e32 v51, 0xbf7d64f0, v53
	v_add_f32_e32 v7, v27, v7
	v_fma_f32 v53, 0x3ed4b147, v39, -v50
	v_mul_f32_e32 v52, 0xbf7d64f0, v52
	v_add_f32_e32 v6, v8, v6
	v_fmamk_f32 v8, v44, 0xbe11bafb, v51
	v_mul_f32_e32 v55, 0xbf4178ce, v55
	v_add_f32_e32 v7, v53, v7
	v_fma_f32 v53, 0xbe11bafb, v40, -v52
	v_mul_f32_e32 v54, 0xbf4178ce, v54
	v_add_f32_e32 v6, v8, v6
	v_fmamk_f32 v8, v46, 0xbf27a4f4, v55
	v_mul_f32_e32 v57, 0xbe903f40, v57
	v_add_f32_e32 v7, v53, v7
	v_fma_f32 v53, 0xbf27a4f4, v42, -v54
	v_mul_f32_e32 v56, 0xbe903f40, v56
	v_fma_f32 v69, 0xbf27a4f4, v45, -v72
	v_add_f32_e32 v6, v8, v6
	v_fmamk_f32 v8, v47, 0xbf75a155, v57
	v_add_f32_e32 v53, v53, v7
	v_fma_f32 v72, 0xbf75a155, v43, -v56
	v_add_f32_e32 v69, v28, v69
	v_fma_f32 v63, 0xbe11bafb, v41, -v63
	v_fmac_f32_e32 v62, 0xbf27a4f4, v38
	v_add_f32_e32 v7, v8, v6
	v_add_f32_e32 v6, v72, v53
	;; [unrolled: 1-line block ×4, first 2 shown]
	v_fma_f32 v9, 0x3f575c64, v44, -v60
	v_add_f32_e32 v53, v27, v62
	v_fmac_f32_e32 v65, 0xbe11bafb, v39
	v_add_f32_e32 v1, v1, v3
	v_add_f32_e32 v0, v17, v0
	;; [unrolled: 1-line block ×3, first 2 shown]
	v_fma_f32 v8, 0xbf75a155, v46, -v64
	v_add_f32_e32 v9, v65, v53
	v_fmac_f32_e32 v68, 0x3f575c64, v40
	v_add_f32_e32 v0, v0, v2
	v_fma_f32 v2, 0xbe11bafb, v45, -v59
	v_add_f32_e32 v3, v8, v3
	v_fma_f32 v8, 0x3ed4b147, v47, -v61
	v_add_f32_e32 v9, v68, v9
	v_fmac_f32_e32 v71, 0xbf75a155, v42
	v_add_f32_e32 v2, v28, v2
	v_fma_f32 v17, 0xbf75a155, v41, -v66
	v_add_f32_e32 v3, v8, v3
	v_fmac_f32_e32 v74, 0xbe11bafb, v38
	v_add_f32_e32 v8, v71, v9
	v_fmac_f32_e32 v67, 0x3ed4b147, v43
	v_add_f32_e32 v9, v17, v2
	v_fma_f32 v17, 0x3ed4b147, v44, -v70
	v_add_f32_e32 v53, v27, v74
	v_fmac_f32_e32 v76, 0xbf75a155, v39
	v_add_f32_e32 v2, v67, v8
	v_fma_f32 v8, 0x3ed4b147, v45, -v16
	v_add_f32_e32 v9, v17, v9
	v_fma_f32 v16, 0x3f575c64, v46, -v73
	v_add_f32_e32 v17, v76, v53
	v_fmac_f32_e32 v77, 0x3ed4b147, v40
	v_add_f32_e32 v8, v28, v8
	v_fma_f32 v53, 0xbf27a4f4, v41, -v79
	;; [unrolled: 6-line block ×3, first 2 shown]
	v_fmac_f32_e32 v78, 0x3ed4b147, v38
	v_add_f32_e32 v9, v16, v9
	v_add_f32_e32 v16, v19, v17
	v_fmac_f32_e32 v75, 0xbf27a4f4, v43
	v_add_f32_e32 v17, v18, v8
	v_fma_f32 v18, 0xbe11bafb, v46, -v80
	v_add_f32_e32 v19, v27, v78
	v_fmac_f32_e32 v14, 0xbf27a4f4, v39
	v_fma_f32 v15, 0x3f575c64, v45, -v15
	v_fmac_f32_e32 v48, 0x3f575c64, v38
	v_add_f32_e32 v8, v75, v16
	v_add_f32_e32 v16, v18, v17
	;; [unrolled: 1-line block ×3, first 2 shown]
	v_fmac_f32_e32 v11, 0xbf75a155, v40
	v_add_f32_e32 v15, v28, v15
	v_fma_f32 v17, 0x3ed4b147, v41, -v49
	v_add_f32_e32 v18, v27, v48
	v_fmac_f32_e32 v50, 0x3ed4b147, v39
	v_add_f32_e32 v11, v11, v14
	v_fmac_f32_e32 v81, 0xbe11bafb, v42
	v_add_f32_e32 v14, v17, v15
	v_fma_f32 v15, 0xbe11bafb, v44, -v51
	v_add_f32_e32 v17, v50, v18
	v_fmac_f32_e32 v52, 0xbe11bafb, v40
	v_add_f32_e32 v18, v81, v11
	v_fmac_f32_e32 v54, 0xbf27a4f4, v42
	v_add_f32_e32 v11, v15, v14
	v_fma_f32 v14, 0xbf27a4f4, v46, -v55
	v_add_f32_e32 v15, v52, v17
	v_mul_u32_u24_e32 v17, 0x50, v24
	v_fma_f32 v10, 0x3f575c64, v47, -v10
	v_fmac_f32_e32 v82, 0x3f575c64, v43
	v_add_f32_e32 v14, v14, v11
	v_fma_f32 v19, 0xbf75a155, v47, -v57
	v_add_f32_e32 v27, v54, v15
	v_fmac_f32_e32 v56, 0xbf75a155, v43
	v_add3_u32 v17, v37, v17, v36
	v_add_f32_e32 v11, v10, v16
	v_add_f32_e32 v10, v82, v18
	v_add_f32_e32 v15, v19, v14
	v_add_f32_e32 v14, v56, v27
	ds_write2_b64 v17, v[0:1], v[6:7] offset1:1
	ds_write2_b64 v17, v[4:5], v[12:13] offset0:2 offset1:3
	ds_write2_b64 v17, v[31:32], v[29:30] offset0:4 offset1:5
	;; [unrolled: 1-line block ×4, first 2 shown]
	ds_write_b64 v17, v[14:15] offset:80
.LBB0_20:
	s_or_b32 exec_lo, exec_lo, s1
	v_and_b32_e32 v0, 0xff, v24
	s_waitcnt lgkmcnt(0)
	s_barrier
	buffer_gl0_inv
	v_add_nc_u32_e32 v14, 0x400, v35
	v_mul_lo_u16 v0, 0x75, v0
	v_mov_b32_e32 v30, 3
	v_cmp_gt_u32_e64 s0, 0x42, v24
	v_lshrrev_b16 v0, 8, v0
	v_sub_nc_u16 v1, v24, v0
	v_lshrrev_b16 v1, 1, v1
	v_and_b32_e32 v1, 0x7f, v1
	v_add_nc_u16 v0, v1, v0
	v_mov_b32_e32 v1, 5
	v_lshrrev_b16 v19, 3, v0
	v_mul_lo_u16 v0, v19, 11
	v_and_b32_e32 v19, 0xffff, v19
	v_sub_nc_u16 v29, v24, v0
	v_mad_u32_u24 v19, 0x210, v19, 0
	v_mul_u32_u24_sdwa v0, v29, v1 dst_sel:DWORD dst_unused:UNUSED_PAD src0_sel:BYTE_0 src1_sel:DWORD
	v_lshlrev_b32_sdwa v31, v30, v29 dst_sel:DWORD dst_unused:UNUSED_PAD src0_sel:DWORD src1_sel:BYTE_0
	v_lshlrev_b32_e32 v8, 3, v0
	v_add3_u32 v19, v19, v31, v36
	s_clause 0x2
	global_load_dwordx4 v[0:3], v8, s[12:13]
	global_load_dwordx4 v[4:7], v8, s[12:13] offset:16
	global_load_dwordx2 v[12:13], v8, s[12:13] offset:32
	ds_read2_b64 v[8:11], v35 offset0:77 offset1:154
	ds_read2_b64 v[15:18], v14 offset0:103 offset1:180
	ds_read_b64 v[27:28], v35 offset:3080
	ds_read_b64 v[29:30], v34
	s_waitcnt vmcnt(0) lgkmcnt(0)
	s_barrier
	buffer_gl0_inv
	v_mul_f32_e32 v31, v1, v9
	v_mul_f32_e32 v1, v1, v8
	;; [unrolled: 1-line block ×10, first 2 shown]
	v_fma_f32 v8, v0, v8, -v31
	v_fmac_f32_e32 v1, v0, v9
	v_fma_f32 v0, v2, v10, -v32
	v_fmac_f32_e32 v3, v2, v11
	;; [unrolled: 2-line block ×5, first 2 shown]
	v_add_f32_e32 v18, v1, v5
	v_add_f32_e32 v12, v30, v3
	v_sub_f32_e32 v11, v3, v7
	v_add_f32_e32 v16, v2, v6
	v_sub_f32_e32 v17, v5, v13
	v_add_f32_e32 v5, v5, v13
	v_add_f32_e32 v3, v3, v7
	;; [unrolled: 1-line block ×3, first 2 shown]
	v_sub_f32_e32 v2, v2, v6
	v_fmac_f32_e32 v8, -0.5, v16
	v_fmac_f32_e32 v1, -0.5, v5
	v_add_f32_e32 v9, v29, v0
	v_add_f32_e32 v10, v0, v4
	v_fmac_f32_e32 v30, -0.5, v3
	v_add_f32_e32 v3, v15, v6
	v_fmamk_f32 v5, v17, 0x3f5db3d7, v8
	v_fmamk_f32 v15, v2, 0xbf5db3d7, v1
	v_fmac_f32_e32 v8, 0xbf5db3d7, v17
	v_fmac_f32_e32 v1, 0x3f5db3d7, v2
	v_sub_f32_e32 v0, v0, v4
	v_add_f32_e32 v4, v9, v4
	v_fma_f32 v9, -0.5, v10, v29
	v_add_f32_e32 v6, v18, v13
	v_mul_f32_e32 v2, 0x3f5db3d7, v15
	v_mul_f32_e32 v16, -0.5, v8
	v_mul_f32_e32 v17, 0xbf5db3d7, v5
	v_mul_f32_e32 v18, -0.5, v1
	v_add_f32_e32 v7, v12, v7
	v_fmamk_f32 v10, v11, 0x3f5db3d7, v9
	v_fmac_f32_e32 v9, 0xbf5db3d7, v11
	v_fmamk_f32 v11, v0, 0xbf5db3d7, v30
	v_fmac_f32_e32 v30, 0x3f5db3d7, v0
	v_fmac_f32_e32 v2, 0.5, v5
	v_fmac_f32_e32 v16, 0x3f5db3d7, v1
	v_fmac_f32_e32 v17, 0.5, v15
	v_fmac_f32_e32 v18, 0xbf5db3d7, v8
	v_add_f32_e32 v12, v4, v3
	v_add_f32_e32 v13, v7, v6
	v_sub_f32_e32 v0, v4, v3
	v_sub_f32_e32 v1, v7, v6
	v_add_f32_e32 v4, v10, v2
	v_add_f32_e32 v6, v9, v16
	;; [unrolled: 1-line block ×4, first 2 shown]
	v_sub_f32_e32 v2, v10, v2
	v_sub_f32_e32 v8, v9, v16
	;; [unrolled: 1-line block ×4, first 2 shown]
	ds_write2_b64 v19, v[12:13], v[4:5] offset1:11
	ds_write2_b64 v19, v[6:7], v[0:1] offset0:22 offset1:33
	ds_write2_b64 v19, v[2:3], v[8:9] offset0:44 offset1:55
	s_waitcnt lgkmcnt(0)
	s_barrier
	buffer_gl0_inv
	s_and_saveexec_b32 s1, s0
	s_cbranch_execz .LBB0_22
; %bb.21:
	v_add_nc_u32_e32 v0, 0x800, v35
	ds_read2_b64 v[8:11], v0 offset0:74 offset1:140
	ds_read_b64 v[12:13], v34
	ds_read2_b64 v[4:7], v35 offset0:66 offset1:132
	ds_read2_b64 v[0:3], v14 offset0:70 offset1:136
	s_waitcnt lgkmcnt(3)
	v_mov_b32_e32 v26, v11
	v_mov_b32_e32 v25, v10
.LBB0_22:
	s_or_b32 exec_lo, exec_lo, s1
	s_waitcnt lgkmcnt(0)
	s_barrier
	buffer_gl0_inv
	s_and_saveexec_b32 s1, s0
	s_cbranch_execz .LBB0_24
; %bb.23:
	v_add_nc_u32_e32 v10, 0xffffffbe, v24
	v_mov_b32_e32 v11, 0
	v_add_nc_u32_e32 v18, 0x400, v35
	v_add_nc_u32_e32 v19, 0x800, v35
	v_cndmask_b32_e64 v10, v10, v24, s0
	v_mul_i32_i24_e32 v10, 6, v10
	v_lshlrev_b64 v[10:11], 3, v[10:11]
	v_add_co_u32 v10, s0, s12, v10
	v_add_co_ci_u32_e64 v11, s0, s13, v11, s0
	s_clause 0x2
	global_load_dwordx4 v[14:17], v[10:11], off offset:440
	global_load_dwordx4 v[27:30], v[10:11], off offset:472
	;; [unrolled: 1-line block ×3, first 2 shown]
	s_waitcnt vmcnt(2)
	v_mul_f32_e32 v10, v5, v15
	s_waitcnt vmcnt(1)
	v_mul_f32_e32 v11, v26, v30
	;; [unrolled: 2-line block ×3, first 2 shown]
	v_mul_f32_e32 v32, v1, v37
	v_mul_f32_e32 v40, v7, v17
	;; [unrolled: 1-line block ×9, first 2 shown]
	v_fma_f32 v4, v4, v14, -v10
	v_fma_f32 v10, v25, v29, -v11
	;; [unrolled: 1-line block ×6, first 2 shown]
	v_fmac_f32_e32 v30, v26, v29
	v_fmac_f32_e32 v15, v5, v14
	;; [unrolled: 1-line block ×6, first 2 shown]
	v_sub_f32_e32 v1, v4, v10
	v_sub_f32_e32 v3, v2, v0
	v_add_f32_e32 v7, v15, v30
	v_add_f32_e32 v9, v37, v39
	;; [unrolled: 1-line block ×6, first 2 shown]
	v_sub_f32_e32 v5, v6, v8
	v_sub_f32_e32 v6, v15, v30
	v_sub_f32_e32 v8, v39, v37
	v_sub_f32_e32 v10, v17, v28
	v_sub_f32_e32 v16, v7, v9
	v_add_f32_e32 v25, v11, v7
	v_sub_f32_e32 v26, v4, v0
	v_add_f32_e32 v28, v2, v4
	v_sub_f32_e32 v14, v1, v3
	v_sub_f32_e32 v15, v3, v5
	v_add_f32_e32 v3, v3, v5
	v_sub_f32_e32 v17, v9, v11
	v_sub_f32_e32 v27, v0, v2
	;; [unrolled: 1-line block ×4, first 2 shown]
	v_add_f32_e32 v8, v8, v10
	v_sub_f32_e32 v5, v5, v1
	v_sub_f32_e32 v7, v11, v7
	;; [unrolled: 1-line block ×4, first 2 shown]
	v_mul_f32_e32 v11, 0x3f4a47b2, v16
	v_add_f32_e32 v9, v9, v25
	v_mul_f32_e32 v16, 0x3f4a47b2, v26
	v_add_f32_e32 v26, v0, v28
	;; [unrolled: 2-line block ×3, first 2 shown]
	v_mul_f32_e32 v15, 0x3d64c772, v17
	v_mul_f32_e32 v28, 0xbf08b237, v30
	v_add_f32_e32 v6, v8, v6
	v_mul_f32_e32 v8, 0x3f5ff5aa, v5
	v_mul_f32_e32 v30, 0x3f5ff5aa, v4
	v_add_f32_e32 v1, v13, v9
	v_add_f32_e32 v0, v12, v26
	v_mul_f32_e32 v25, 0x3d64c772, v27
	v_fmamk_f32 v31, v14, 0x3eae86e6, v10
	v_fmamk_f32 v17, v17, 0x3d64c772, v11
	;; [unrolled: 1-line block ×4, first 2 shown]
	v_fma_f32 v8, 0xbeae86e6, v14, -v8
	v_fma_f32 v11, 0xbf3bfb3b, v7, -v11
	;; [unrolled: 1-line block ×6, first 2 shown]
	v_fmamk_f32 v5, v9, 0xbf955555, v1
	v_fmamk_f32 v9, v26, 0xbf955555, v0
	v_fma_f32 v4, 0x3f5ff5aa, v4, -v28
	v_fma_f32 v2, 0x3f3bfb3b, v2, -v25
	v_fmac_f32_e32 v31, 0x3ee1c552, v3
	v_fmac_f32_e32 v12, 0x3ee1c552, v6
	;; [unrolled: 1-line block ×5, first 2 shown]
	v_add_f32_e32 v15, v17, v5
	v_add_f32_e32 v17, v13, v9
	;; [unrolled: 1-line block ×5, first 2 shown]
	v_fmac_f32_e32 v4, 0x3ee1c552, v6
	v_add_f32_e32 v25, v2, v9
	v_sub_f32_e32 v2, v17, v12
	v_add_f32_e32 v5, v8, v11
	v_sub_f32_e32 v7, v13, v10
	;; [unrolled: 2-line block ×4, first 2 shown]
	v_add_f32_e32 v12, v12, v17
	v_add_f32_e32 v6, v4, v25
	v_sub_f32_e32 v8, v25, v4
	v_add_f32_e32 v3, v31, v15
	v_sub_f32_e32 v4, v14, v16
	ds_write_b64 v34, v[0:1]
	ds_write2_b64 v35, v[12:13], v[10:11] offset0:66 offset1:132
	ds_write2_b64 v18, v[8:9], v[6:7] offset0:70 offset1:136
	;; [unrolled: 1-line block ×3, first 2 shown]
.LBB0_24:
	s_or_b32 exec_lo, exec_lo, s1
	s_waitcnt lgkmcnt(0)
	s_barrier
	buffer_gl0_inv
	s_and_saveexec_b32 s0, vcc_lo
	s_cbranch_execz .LBB0_26
; %bb.25:
	v_mul_lo_u32 v2, s3, v22
	v_mul_lo_u32 v3, s2, v23
	v_mad_u64_u32 v[0:1], null, s2, v22, 0
	v_lshl_add_u32 v15, v24, 3, v33
	v_mov_b32_e32 v25, 0
	v_lshlrev_b64 v[4:5], 3, v[20:21]
	v_add_nc_u32_e32 v6, 0x4d, v24
	v_add_nc_u32_e32 v8, 0x9a, v24
	;; [unrolled: 1-line block ×3, first 2 shown]
	v_add3_u32 v1, v1, v3, v2
	v_lshlrev_b64 v[13:14], 3, v[24:25]
	v_mov_b32_e32 v7, v25
	v_mov_b32_e32 v9, v25
	v_add_nc_u32_e32 v18, 0x800, v15
	v_lshlrev_b64 v[11:12], 3, v[0:1]
	ds_read2_b64 v[0:3], v15 offset1:77
	v_mov_b32_e32 v17, v25
	v_add_co_u32 v16, vcc_lo, s10, v11
	v_add_co_ci_u32_e32 v12, vcc_lo, s11, v12, vcc_lo
	v_mov_b32_e32 v11, v25
	v_add_co_u32 v20, vcc_lo, v16, v4
	v_add_co_ci_u32_e32 v21, vcc_lo, v12, v5, vcc_lo
	v_lshlrev_b64 v[4:5], 3, v[6:7]
	v_add_co_u32 v6, vcc_lo, v20, v13
	v_add_co_ci_u32_e32 v7, vcc_lo, v21, v14, vcc_lo
	v_add_nc_u32_e32 v16, 0x134, v24
	v_add_co_u32 v12, vcc_lo, v20, v4
	v_add_co_ci_u32_e32 v13, vcc_lo, v21, v5, vcc_lo
	s_waitcnt lgkmcnt(0)
	global_store_dwordx2 v[6:7], v[0:1], off
	ds_read2_b64 v[4:7], v15 offset0:154 offset1:231
	v_lshlrev_b64 v[0:1], 3, v[8:9]
	v_lshlrev_b64 v[14:15], 3, v[10:11]
	ds_read2_b64 v[8:11], v18 offset0:52 offset1:129
	v_add_nc_u32_e32 v24, 0x181, v24
	v_lshlrev_b64 v[16:17], 3, v[16:17]
	v_add_co_u32 v0, vcc_lo, v20, v0
	v_add_co_ci_u32_e32 v1, vcc_lo, v21, v1, vcc_lo
	v_add_co_u32 v14, vcc_lo, v20, v14
	v_lshlrev_b64 v[18:19], 3, v[24:25]
	v_add_co_ci_u32_e32 v15, vcc_lo, v21, v15, vcc_lo
	v_add_co_u32 v16, vcc_lo, v20, v16
	v_add_co_ci_u32_e32 v17, vcc_lo, v21, v17, vcc_lo
	v_add_co_u32 v18, vcc_lo, v20, v18
	v_add_co_ci_u32_e32 v19, vcc_lo, v21, v19, vcc_lo
	global_store_dwordx2 v[12:13], v[2:3], off
	s_waitcnt lgkmcnt(1)
	global_store_dwordx2 v[0:1], v[4:5], off
	global_store_dwordx2 v[14:15], v[6:7], off
	s_waitcnt lgkmcnt(0)
	global_store_dwordx2 v[16:17], v[8:9], off
	global_store_dwordx2 v[18:19], v[10:11], off
.LBB0_26:
	s_endpgm
	.section	.rodata,"a",@progbits
	.p2align	6, 0x0
	.amdhsa_kernel fft_rtc_fwd_len462_factors_11_6_7_wgs_231_tpt_77_sp_op_CI_CI_unitstride_sbrr_C2R_dirReg
		.amdhsa_group_segment_fixed_size 0
		.amdhsa_private_segment_fixed_size 0
		.amdhsa_kernarg_size 104
		.amdhsa_user_sgpr_count 6
		.amdhsa_user_sgpr_private_segment_buffer 1
		.amdhsa_user_sgpr_dispatch_ptr 0
		.amdhsa_user_sgpr_queue_ptr 0
		.amdhsa_user_sgpr_kernarg_segment_ptr 1
		.amdhsa_user_sgpr_dispatch_id 0
		.amdhsa_user_sgpr_flat_scratch_init 0
		.amdhsa_user_sgpr_private_segment_size 0
		.amdhsa_wavefront_size32 1
		.amdhsa_uses_dynamic_stack 0
		.amdhsa_system_sgpr_private_segment_wavefront_offset 0
		.amdhsa_system_sgpr_workgroup_id_x 1
		.amdhsa_system_sgpr_workgroup_id_y 0
		.amdhsa_system_sgpr_workgroup_id_z 0
		.amdhsa_system_sgpr_workgroup_info 0
		.amdhsa_system_vgpr_workitem_id 0
		.amdhsa_next_free_vgpr 83
		.amdhsa_next_free_sgpr 27
		.amdhsa_reserve_vcc 1
		.amdhsa_reserve_flat_scratch 0
		.amdhsa_float_round_mode_32 0
		.amdhsa_float_round_mode_16_64 0
		.amdhsa_float_denorm_mode_32 3
		.amdhsa_float_denorm_mode_16_64 3
		.amdhsa_dx10_clamp 1
		.amdhsa_ieee_mode 1
		.amdhsa_fp16_overflow 0
		.amdhsa_workgroup_processor_mode 1
		.amdhsa_memory_ordered 1
		.amdhsa_forward_progress 0
		.amdhsa_shared_vgpr_count 0
		.amdhsa_exception_fp_ieee_invalid_op 0
		.amdhsa_exception_fp_denorm_src 0
		.amdhsa_exception_fp_ieee_div_zero 0
		.amdhsa_exception_fp_ieee_overflow 0
		.amdhsa_exception_fp_ieee_underflow 0
		.amdhsa_exception_fp_ieee_inexact 0
		.amdhsa_exception_int_div_zero 0
	.end_amdhsa_kernel
	.text
.Lfunc_end0:
	.size	fft_rtc_fwd_len462_factors_11_6_7_wgs_231_tpt_77_sp_op_CI_CI_unitstride_sbrr_C2R_dirReg, .Lfunc_end0-fft_rtc_fwd_len462_factors_11_6_7_wgs_231_tpt_77_sp_op_CI_CI_unitstride_sbrr_C2R_dirReg
                                        ; -- End function
	.section	.AMDGPU.csdata,"",@progbits
; Kernel info:
; codeLenInByte = 6136
; NumSgprs: 29
; NumVgprs: 83
; ScratchSize: 0
; MemoryBound: 0
; FloatMode: 240
; IeeeMode: 1
; LDSByteSize: 0 bytes/workgroup (compile time only)
; SGPRBlocks: 3
; VGPRBlocks: 10
; NumSGPRsForWavesPerEU: 29
; NumVGPRsForWavesPerEU: 83
; Occupancy: 10
; WaveLimiterHint : 1
; COMPUTE_PGM_RSRC2:SCRATCH_EN: 0
; COMPUTE_PGM_RSRC2:USER_SGPR: 6
; COMPUTE_PGM_RSRC2:TRAP_HANDLER: 0
; COMPUTE_PGM_RSRC2:TGID_X_EN: 1
; COMPUTE_PGM_RSRC2:TGID_Y_EN: 0
; COMPUTE_PGM_RSRC2:TGID_Z_EN: 0
; COMPUTE_PGM_RSRC2:TIDIG_COMP_CNT: 0
	.text
	.p2alignl 6, 3214868480
	.fill 48, 4, 3214868480
	.type	__hip_cuid_478be0d2f2e6fc2,@object ; @__hip_cuid_478be0d2f2e6fc2
	.section	.bss,"aw",@nobits
	.globl	__hip_cuid_478be0d2f2e6fc2
__hip_cuid_478be0d2f2e6fc2:
	.byte	0                               ; 0x0
	.size	__hip_cuid_478be0d2f2e6fc2, 1

	.ident	"AMD clang version 19.0.0git (https://github.com/RadeonOpenCompute/llvm-project roc-6.4.0 25133 c7fe45cf4b819c5991fe208aaa96edf142730f1d)"
	.section	".note.GNU-stack","",@progbits
	.addrsig
	.addrsig_sym __hip_cuid_478be0d2f2e6fc2
	.amdgpu_metadata
---
amdhsa.kernels:
  - .args:
      - .actual_access:  read_only
        .address_space:  global
        .offset:         0
        .size:           8
        .value_kind:     global_buffer
      - .offset:         8
        .size:           8
        .value_kind:     by_value
      - .actual_access:  read_only
        .address_space:  global
        .offset:         16
        .size:           8
        .value_kind:     global_buffer
      - .actual_access:  read_only
        .address_space:  global
        .offset:         24
        .size:           8
        .value_kind:     global_buffer
      - .actual_access:  read_only
        .address_space:  global
        .offset:         32
        .size:           8
        .value_kind:     global_buffer
      - .offset:         40
        .size:           8
        .value_kind:     by_value
      - .actual_access:  read_only
        .address_space:  global
        .offset:         48
        .size:           8
        .value_kind:     global_buffer
      - .actual_access:  read_only
        .address_space:  global
        .offset:         56
        .size:           8
        .value_kind:     global_buffer
      - .offset:         64
        .size:           4
        .value_kind:     by_value
      - .actual_access:  read_only
        .address_space:  global
        .offset:         72
        .size:           8
        .value_kind:     global_buffer
      - .actual_access:  read_only
        .address_space:  global
        .offset:         80
        .size:           8
        .value_kind:     global_buffer
      - .actual_access:  read_only
        .address_space:  global
        .offset:         88
        .size:           8
        .value_kind:     global_buffer
      - .actual_access:  write_only
        .address_space:  global
        .offset:         96
        .size:           8
        .value_kind:     global_buffer
    .group_segment_fixed_size: 0
    .kernarg_segment_align: 8
    .kernarg_segment_size: 104
    .language:       OpenCL C
    .language_version:
      - 2
      - 0
    .max_flat_workgroup_size: 231
    .name:           fft_rtc_fwd_len462_factors_11_6_7_wgs_231_tpt_77_sp_op_CI_CI_unitstride_sbrr_C2R_dirReg
    .private_segment_fixed_size: 0
    .sgpr_count:     29
    .sgpr_spill_count: 0
    .symbol:         fft_rtc_fwd_len462_factors_11_6_7_wgs_231_tpt_77_sp_op_CI_CI_unitstride_sbrr_C2R_dirReg.kd
    .uniform_work_group_size: 1
    .uses_dynamic_stack: false
    .vgpr_count:     83
    .vgpr_spill_count: 0
    .wavefront_size: 32
    .workgroup_processor_mode: 1
amdhsa.target:   amdgcn-amd-amdhsa--gfx1030
amdhsa.version:
  - 1
  - 2
...

	.end_amdgpu_metadata
